;; amdgpu-corpus repo=ROCm/rocFFT kind=compiled arch=gfx906 opt=O3
	.text
	.amdgcn_target "amdgcn-amd-amdhsa--gfx906"
	.amdhsa_code_object_version 6
	.protected	fft_rtc_fwd_len1080_factors_6_10_6_3_wgs_216_tpt_108_halfLds_sp_op_CI_CI_sbrr_dirReg ; -- Begin function fft_rtc_fwd_len1080_factors_6_10_6_3_wgs_216_tpt_108_halfLds_sp_op_CI_CI_sbrr_dirReg
	.globl	fft_rtc_fwd_len1080_factors_6_10_6_3_wgs_216_tpt_108_halfLds_sp_op_CI_CI_sbrr_dirReg
	.p2align	8
	.type	fft_rtc_fwd_len1080_factors_6_10_6_3_wgs_216_tpt_108_halfLds_sp_op_CI_CI_sbrr_dirReg,@function
fft_rtc_fwd_len1080_factors_6_10_6_3_wgs_216_tpt_108_halfLds_sp_op_CI_CI_sbrr_dirReg: ; @fft_rtc_fwd_len1080_factors_6_10_6_3_wgs_216_tpt_108_halfLds_sp_op_CI_CI_sbrr_dirReg
; %bb.0:
	s_load_dwordx4 s[16:19], s[4:5], 0x18
	s_load_dwordx4 s[8:11], s[4:5], 0x0
	;; [unrolled: 1-line block ×3, first 2 shown]
	v_mul_u32_u24_e32 v1, 0x25f, v0
	v_lshrrev_b32_e32 v31, 16, v1
	s_waitcnt lgkmcnt(0)
	s_load_dwordx2 s[2:3], s[16:17], 0x0
	s_load_dwordx2 s[20:21], s[18:19], 0x0
	v_cmp_lt_u64_e64 s[0:1], s[10:11], 2
	v_mov_b32_e32 v7, 0
	v_mov_b32_e32 v5, 0
	v_lshl_add_u32 v9, s6, 1, v31
	v_mov_b32_e32 v10, v7
	s_and_b64 vcc, exec, s[0:1]
	v_mov_b32_e32 v6, 0
	s_cbranch_vccnz .LBB0_8
; %bb.1:
	s_load_dwordx2 s[0:1], s[4:5], 0x10
	s_add_u32 s6, s18, 8
	s_addc_u32 s7, s19, 0
	s_add_u32 s22, s16, 8
	s_addc_u32 s23, s17, 0
	v_mov_b32_e32 v5, 0
	s_waitcnt lgkmcnt(0)
	s_add_u32 s24, s0, 8
	v_mov_b32_e32 v6, 0
	v_mov_b32_e32 v1, v5
	s_addc_u32 s25, s1, 0
	s_mov_b64 s[26:27], 1
	v_mov_b32_e32 v2, v6
.LBB0_2:                                ; =>This Inner Loop Header: Depth=1
	s_load_dwordx2 s[28:29], s[24:25], 0x0
                                        ; implicit-def: $vgpr3_vgpr4
	s_waitcnt lgkmcnt(0)
	v_or_b32_e32 v8, s29, v10
	v_cmp_ne_u64_e32 vcc, 0, v[7:8]
	s_and_saveexec_b64 s[0:1], vcc
	s_xor_b64 s[30:31], exec, s[0:1]
	s_cbranch_execz .LBB0_4
; %bb.3:                                ;   in Loop: Header=BB0_2 Depth=1
	v_cvt_f32_u32_e32 v3, s28
	v_cvt_f32_u32_e32 v4, s29
	s_sub_u32 s0, 0, s28
	s_subb_u32 s1, 0, s29
	v_mac_f32_e32 v3, 0x4f800000, v4
	v_rcp_f32_e32 v3, v3
	v_mul_f32_e32 v3, 0x5f7ffffc, v3
	v_mul_f32_e32 v4, 0x2f800000, v3
	v_trunc_f32_e32 v4, v4
	v_mac_f32_e32 v3, 0xcf800000, v4
	v_cvt_u32_f32_e32 v4, v4
	v_cvt_u32_f32_e32 v3, v3
	v_mul_lo_u32 v8, s0, v4
	v_mul_hi_u32 v11, s0, v3
	v_mul_lo_u32 v13, s1, v3
	v_mul_lo_u32 v12, s0, v3
	v_add_u32_e32 v8, v11, v8
	v_add_u32_e32 v8, v8, v13
	v_mul_hi_u32 v11, v3, v12
	v_mul_lo_u32 v13, v3, v8
	v_mul_hi_u32 v15, v3, v8
	v_mul_hi_u32 v14, v4, v12
	v_mul_lo_u32 v12, v4, v12
	v_mul_hi_u32 v16, v4, v8
	v_add_co_u32_e32 v11, vcc, v11, v13
	v_addc_co_u32_e32 v13, vcc, 0, v15, vcc
	v_mul_lo_u32 v8, v4, v8
	v_add_co_u32_e32 v11, vcc, v11, v12
	v_addc_co_u32_e32 v11, vcc, v13, v14, vcc
	v_addc_co_u32_e32 v12, vcc, 0, v16, vcc
	v_add_co_u32_e32 v8, vcc, v11, v8
	v_addc_co_u32_e32 v11, vcc, 0, v12, vcc
	v_add_co_u32_e32 v3, vcc, v3, v8
	v_addc_co_u32_e32 v4, vcc, v4, v11, vcc
	v_mul_lo_u32 v8, s0, v4
	v_mul_hi_u32 v11, s0, v3
	v_mul_lo_u32 v12, s1, v3
	v_mul_lo_u32 v13, s0, v3
	v_add_u32_e32 v8, v11, v8
	v_add_u32_e32 v8, v8, v12
	v_mul_lo_u32 v14, v3, v8
	v_mul_hi_u32 v15, v3, v13
	v_mul_hi_u32 v16, v3, v8
	;; [unrolled: 1-line block ×3, first 2 shown]
	v_mul_lo_u32 v13, v4, v13
	v_mul_hi_u32 v11, v4, v8
	v_add_co_u32_e32 v14, vcc, v15, v14
	v_addc_co_u32_e32 v15, vcc, 0, v16, vcc
	v_mul_lo_u32 v8, v4, v8
	v_add_co_u32_e32 v13, vcc, v14, v13
	v_addc_co_u32_e32 v12, vcc, v15, v12, vcc
	v_addc_co_u32_e32 v11, vcc, 0, v11, vcc
	v_add_co_u32_e32 v8, vcc, v12, v8
	v_addc_co_u32_e32 v11, vcc, 0, v11, vcc
	v_add_co_u32_e32 v8, vcc, v3, v8
	v_addc_co_u32_e32 v11, vcc, v4, v11, vcc
	v_mad_u64_u32 v[3:4], s[0:1], v9, v11, 0
	v_mul_hi_u32 v12, v9, v8
	v_add_co_u32_e32 v13, vcc, v12, v3
	v_addc_co_u32_e32 v14, vcc, 0, v4, vcc
	v_mad_u64_u32 v[3:4], s[0:1], v10, v8, 0
	v_mad_u64_u32 v[11:12], s[0:1], v10, v11, 0
	v_add_co_u32_e32 v3, vcc, v13, v3
	v_addc_co_u32_e32 v3, vcc, v14, v4, vcc
	v_addc_co_u32_e32 v4, vcc, 0, v12, vcc
	v_add_co_u32_e32 v8, vcc, v3, v11
	v_addc_co_u32_e32 v11, vcc, 0, v4, vcc
	v_mul_lo_u32 v12, s29, v8
	v_mul_lo_u32 v13, s28, v11
	v_mad_u64_u32 v[3:4], s[0:1], s28, v8, 0
	v_add3_u32 v4, v4, v13, v12
	v_sub_u32_e32 v12, v10, v4
	v_mov_b32_e32 v13, s29
	v_sub_co_u32_e32 v3, vcc, v9, v3
	v_subb_co_u32_e64 v12, s[0:1], v12, v13, vcc
	v_subrev_co_u32_e64 v13, s[0:1], s28, v3
	v_subbrev_co_u32_e64 v12, s[0:1], 0, v12, s[0:1]
	v_cmp_le_u32_e64 s[0:1], s29, v12
	v_cndmask_b32_e64 v14, 0, -1, s[0:1]
	v_cmp_le_u32_e64 s[0:1], s28, v13
	v_cndmask_b32_e64 v13, 0, -1, s[0:1]
	v_cmp_eq_u32_e64 s[0:1], s29, v12
	v_cndmask_b32_e64 v12, v14, v13, s[0:1]
	v_add_co_u32_e64 v13, s[0:1], 2, v8
	v_addc_co_u32_e64 v14, s[0:1], 0, v11, s[0:1]
	v_add_co_u32_e64 v15, s[0:1], 1, v8
	v_addc_co_u32_e64 v16, s[0:1], 0, v11, s[0:1]
	v_subb_co_u32_e32 v4, vcc, v10, v4, vcc
	v_cmp_ne_u32_e64 s[0:1], 0, v12
	v_cmp_le_u32_e32 vcc, s29, v4
	v_cndmask_b32_e64 v12, v16, v14, s[0:1]
	v_cndmask_b32_e64 v14, 0, -1, vcc
	v_cmp_le_u32_e32 vcc, s28, v3
	v_cndmask_b32_e64 v3, 0, -1, vcc
	v_cmp_eq_u32_e32 vcc, s29, v4
	v_cndmask_b32_e32 v3, v14, v3, vcc
	v_cmp_ne_u32_e32 vcc, 0, v3
	v_cndmask_b32_e64 v3, v15, v13, s[0:1]
	v_cndmask_b32_e32 v4, v11, v12, vcc
	v_cndmask_b32_e32 v3, v8, v3, vcc
.LBB0_4:                                ;   in Loop: Header=BB0_2 Depth=1
	s_andn2_saveexec_b64 s[0:1], s[30:31]
	s_cbranch_execz .LBB0_6
; %bb.5:                                ;   in Loop: Header=BB0_2 Depth=1
	v_cvt_f32_u32_e32 v3, s28
	s_sub_i32 s30, 0, s28
	v_rcp_iflag_f32_e32 v3, v3
	v_mul_f32_e32 v3, 0x4f7ffffe, v3
	v_cvt_u32_f32_e32 v3, v3
	v_mul_lo_u32 v4, s30, v3
	v_mul_hi_u32 v4, v3, v4
	v_add_u32_e32 v3, v3, v4
	v_mul_hi_u32 v3, v9, v3
	v_mul_lo_u32 v4, v3, s28
	v_add_u32_e32 v8, 1, v3
	v_sub_u32_e32 v4, v9, v4
	v_subrev_u32_e32 v11, s28, v4
	v_cmp_le_u32_e32 vcc, s28, v4
	v_cndmask_b32_e32 v4, v4, v11, vcc
	v_cndmask_b32_e32 v3, v3, v8, vcc
	v_add_u32_e32 v8, 1, v3
	v_cmp_le_u32_e32 vcc, s28, v4
	v_cndmask_b32_e32 v3, v3, v8, vcc
	v_mov_b32_e32 v4, v7
.LBB0_6:                                ;   in Loop: Header=BB0_2 Depth=1
	s_or_b64 exec, exec, s[0:1]
	v_mul_lo_u32 v8, v4, s28
	v_mul_lo_u32 v13, v3, s29
	v_mad_u64_u32 v[11:12], s[0:1], v3, s28, 0
	s_load_dwordx2 s[0:1], s[22:23], 0x0
	s_load_dwordx2 s[28:29], s[6:7], 0x0
	v_add3_u32 v8, v12, v13, v8
	v_sub_co_u32_e32 v9, vcc, v9, v11
	v_subb_co_u32_e32 v8, vcc, v10, v8, vcc
	s_waitcnt lgkmcnt(0)
	v_mul_lo_u32 v10, s0, v8
	v_mul_lo_u32 v11, s1, v9
	v_mad_u64_u32 v[5:6], s[0:1], s0, v9, v[5:6]
	v_mul_lo_u32 v8, s28, v8
	v_mul_lo_u32 v12, s29, v9
	v_mad_u64_u32 v[1:2], s[0:1], s28, v9, v[1:2]
	s_add_u32 s26, s26, 1
	s_addc_u32 s27, s27, 0
	s_add_u32 s6, s6, 8
	v_add3_u32 v2, v12, v2, v8
	s_addc_u32 s7, s7, 0
	v_mov_b32_e32 v8, s10
	s_add_u32 s22, s22, 8
	v_mov_b32_e32 v9, s11
	s_addc_u32 s23, s23, 0
	v_cmp_ge_u64_e32 vcc, s[26:27], v[8:9]
	s_add_u32 s24, s24, 8
	v_add3_u32 v6, v11, v6, v10
	s_addc_u32 s25, s25, 0
	s_cbranch_vccnz .LBB0_9
; %bb.7:                                ;   in Loop: Header=BB0_2 Depth=1
	v_mov_b32_e32 v10, v4
	v_mov_b32_e32 v9, v3
	s_branch .LBB0_2
.LBB0_8:
	v_mov_b32_e32 v1, v5
	v_mov_b32_e32 v3, v9
	;; [unrolled: 1-line block ×4, first 2 shown]
.LBB0_9:
	s_load_dwordx2 s[0:1], s[4:5], 0x28
	s_lshl_b64 s[10:11], s[10:11], 3
	s_add_u32 s4, s18, s10
	s_addc_u32 s5, s19, s11
                                        ; implicit-def: $vgpr30
	s_waitcnt lgkmcnt(0)
	v_cmp_gt_u64_e32 vcc, s[0:1], v[3:4]
	v_cmp_le_u64_e64 s[0:1], s[0:1], v[3:4]
	s_and_saveexec_b64 s[6:7], s[0:1]
	s_xor_b64 s[0:1], exec, s[6:7]
; %bb.10:
	s_mov_b32 s6, 0x25ed098
	v_mul_hi_u32 v5, v0, s6
	v_mul_u32_u24_e32 v5, 0x6c, v5
	v_sub_u32_e32 v30, v0, v5
                                        ; implicit-def: $vgpr0
                                        ; implicit-def: $vgpr5_vgpr6
; %bb.11:
	s_or_saveexec_b64 s[6:7], s[0:1]
	s_load_dwordx2 s[4:5], s[4:5], 0x0
                                        ; implicit-def: $vgpr29
                                        ; implicit-def: $vgpr27
                                        ; implicit-def: $vgpr25
                                        ; implicit-def: $vgpr23
                                        ; implicit-def: $vgpr21
                                        ; implicit-def: $vgpr19
                                        ; implicit-def: $vgpr15
                                        ; implicit-def: $vgpr17
                                        ; implicit-def: $vgpr11
                                        ; implicit-def: $vgpr13
                                        ; implicit-def: $vgpr9
                                        ; implicit-def: $vgpr7
	s_xor_b64 exec, exec, s[6:7]
	s_cbranch_execz .LBB0_15
; %bb.12:
	s_add_u32 s0, s16, s10
	s_mov_b32 s10, 0x25ed098
	v_mul_hi_u32 v7, v0, s10
	s_addc_u32 s1, s17, s11
	s_load_dwordx2 s[0:1], s[0:1], 0x0
	v_lshlrev_b64 v[5:6], 3, v[5:6]
	v_mul_u32_u24_e32 v7, 0x6c, v7
	v_sub_u32_e32 v30, v0, v7
	v_mad_u64_u32 v[7:8], s[10:11], s2, v30, 0
	s_waitcnt lgkmcnt(0)
	v_mul_lo_u32 v13, s1, v3
	v_mul_lo_u32 v14, s0, v4
	v_mad_u64_u32 v[9:10], s[0:1], s0, v3, 0
	v_mov_b32_e32 v0, v8
	v_mad_u64_u32 v[11:12], s[0:1], s3, v30, v[0:1]
	v_add3_u32 v10, v10, v14, v13
	v_lshlrev_b64 v[9:10], 3, v[9:10]
	v_mov_b32_e32 v8, v11
	v_mov_b32_e32 v0, s13
	v_add_co_u32_e64 v11, s[0:1], s12, v9
	v_add_u32_e32 v13, 0xb4, v30
	v_addc_co_u32_e64 v12, s[0:1], v0, v10, s[0:1]
	v_mad_u64_u32 v[9:10], s[0:1], s2, v13, 0
	v_add_co_u32_e64 v0, s[0:1], v11, v5
	v_addc_co_u32_e64 v5, s[0:1], v12, v6, s[0:1]
	v_lshlrev_b64 v[6:7], 3, v[7:8]
	v_mov_b32_e32 v8, v10
	v_mad_u64_u32 v[10:11], s[0:1], s3, v13, v[8:9]
	v_add_u32_e32 v13, 0x168, v30
	v_mad_u64_u32 v[11:12], s[0:1], s2, v13, 0
	v_add_co_u32_e64 v14, s[0:1], v0, v6
	v_mov_b32_e32 v8, v12
	v_addc_co_u32_e64 v15, s[0:1], v5, v7, s[0:1]
	v_lshlrev_b64 v[6:7], 3, v[9:10]
	v_mad_u64_u32 v[8:9], s[0:1], s3, v13, v[8:9]
	v_add_u32_e32 v13, 0x21c, v30
	v_mad_u64_u32 v[9:10], s[0:1], s2, v13, 0
	v_add_co_u32_e64 v16, s[0:1], v0, v6
	v_mov_b32_e32 v12, v8
	v_mov_b32_e32 v8, v10
	v_addc_co_u32_e64 v17, s[0:1], v5, v7, s[0:1]
	v_lshlrev_b64 v[6:7], 3, v[11:12]
	v_mad_u64_u32 v[10:11], s[0:1], s3, v13, v[8:9]
	v_add_u32_e32 v13, 0x2d0, v30
	v_mad_u64_u32 v[11:12], s[0:1], s2, v13, 0
	v_add_co_u32_e64 v18, s[0:1], v0, v6
	v_mov_b32_e32 v8, v12
	v_addc_co_u32_e64 v19, s[0:1], v5, v7, s[0:1]
	v_lshlrev_b64 v[6:7], 3, v[9:10]
	v_mad_u64_u32 v[8:9], s[0:1], s3, v13, v[8:9]
	v_add_co_u32_e64 v20, s[0:1], v0, v6
	v_mov_b32_e32 v12, v8
	v_add_u32_e32 v8, 0x384, v30
	v_addc_co_u32_e64 v21, s[0:1], v5, v7, s[0:1]
	v_mad_u64_u32 v[22:23], s[0:1], s2, v8, 0
	v_lshlrev_b64 v[6:7], 3, v[11:12]
                                        ; implicit-def: $vgpr28
	v_add_co_u32_e64 v24, s[0:1], v0, v6
	v_mov_b32_e32 v6, v23
	v_addc_co_u32_e64 v25, s[0:1], v5, v7, s[0:1]
	v_mad_u64_u32 v[26:27], s[0:1], s3, v8, v[6:7]
	global_load_dwordx2 v[6:7], v[14:15], off
	global_load_dwordx2 v[8:9], v[16:17], off
	;; [unrolled: 1-line block ×4, first 2 shown]
                                        ; implicit-def: $vgpr20
	v_mov_b32_e32 v23, v26
	v_lshlrev_b64 v[14:15], 3, v[22:23]
                                        ; implicit-def: $vgpr22
                                        ; implicit-def: $vgpr26
	v_add_co_u32_e64 v18, s[0:1], v0, v14
	v_addc_co_u32_e64 v19, s[0:1], v5, v15, s[0:1]
	global_load_dwordx2 v[16:17], v[24:25], off
	global_load_dwordx2 v[14:15], v[18:19], off
	s_movk_i32 s0, 0x48
	v_cmp_gt_u32_e64 s[0:1], s0, v30
                                        ; implicit-def: $vgpr18
                                        ; implicit-def: $vgpr24
	s_and_saveexec_b64 s[10:11], s[0:1]
	s_cbranch_execz .LBB0_14
; %bb.13:
	v_add_u32_e32 v22, 0x6c, v30
	v_add_u32_e32 v24, 0x120, v30
	v_mad_u64_u32 v[18:19], s[0:1], s2, v22, 0
	v_mad_u64_u32 v[20:21], s[0:1], s2, v24, 0
	v_add_u32_e32 v41, 0x3f0, v30
	v_mad_u64_u32 v[22:23], s[0:1], s3, v22, v[19:20]
	v_mov_b32_e32 v19, v22
	v_mad_u64_u32 v[21:22], s[0:1], s3, v24, v[21:22]
	v_add_u32_e32 v24, 0x1d4, v30
	v_mad_u64_u32 v[22:23], s[0:1], s2, v24, 0
	v_lshlrev_b64 v[18:19], 3, v[18:19]
	v_add_co_u32_e64 v26, s[0:1], v0, v18
	v_addc_co_u32_e64 v27, s[0:1], v5, v19, s[0:1]
	v_lshlrev_b64 v[18:19], 3, v[20:21]
	v_mov_b32_e32 v20, v23
	v_mad_u64_u32 v[20:21], s[0:1], s3, v24, v[20:21]
	v_add_u32_e32 v21, 0x288, v30
	v_mad_u64_u32 v[24:25], s[0:1], s2, v21, 0
	v_add_co_u32_e64 v28, s[0:1], v0, v18
	v_mov_b32_e32 v23, v20
	v_mov_b32_e32 v20, v25
	v_addc_co_u32_e64 v29, s[0:1], v5, v19, s[0:1]
	v_mad_u64_u32 v[20:21], s[0:1], s3, v21, v[20:21]
	v_lshlrev_b64 v[18:19], 3, v[22:23]
	v_add_co_u32_e64 v32, s[0:1], v0, v18
	v_mov_b32_e32 v25, v20
	v_add_u32_e32 v20, 0x33c, v30
	v_addc_co_u32_e64 v33, s[0:1], v5, v19, s[0:1]
	v_mad_u64_u32 v[34:35], s[0:1], s2, v20, 0
	v_lshlrev_b64 v[18:19], 3, v[24:25]
	v_add_co_u32_e64 v36, s[0:1], v0, v18
	v_mov_b32_e32 v18, v35
	v_addc_co_u32_e64 v37, s[0:1], v5, v19, s[0:1]
	v_mad_u64_u32 v[38:39], s[0:1], s3, v20, v[18:19]
	v_mad_u64_u32 v[39:40], s[0:1], s2, v41, 0
	global_load_dwordx2 v[18:19], v[26:27], off
	global_load_dwordx2 v[20:21], v[28:29], off
	;; [unrolled: 1-line block ×4, first 2 shown]
	v_mov_b32_e32 v35, v38
	v_mov_b32_e32 v28, v40
	v_mad_u64_u32 v[28:29], s[0:1], s3, v41, v[28:29]
	v_lshlrev_b64 v[26:27], 3, v[34:35]
	v_add_co_u32_e64 v32, s[0:1], v0, v26
	v_mov_b32_e32 v40, v28
	v_addc_co_u32_e64 v33, s[0:1], v5, v27, s[0:1]
	v_lshlrev_b64 v[26:27], 3, v[39:40]
	v_add_co_u32_e64 v34, s[0:1], v0, v26
	v_addc_co_u32_e64 v35, s[0:1], v5, v27, s[0:1]
	global_load_dwordx2 v[26:27], v[32:33], off
	global_load_dwordx2 v[28:29], v[34:35], off
.LBB0_14:
	s_or_b64 exec, exec, s[10:11]
.LBB0_15:
	s_or_b64 exec, exec, s[6:7]
	s_waitcnt vmcnt(1)
	v_add_f32_e32 v0, v16, v12
	v_add_f32_e32 v5, v12, v6
	v_fmac_f32_e32 v6, -0.5, v0
	v_sub_f32_e32 v0, v13, v17
	v_mov_b32_e32 v39, v6
	v_fmac_f32_e32 v39, 0x3f5db3d7, v0
	v_fmac_f32_e32 v6, 0xbf5db3d7, v0
	s_waitcnt vmcnt(0)
	v_add_f32_e32 v0, v14, v10
	v_add_f32_e32 v34, v10, v8
	v_fmac_f32_e32 v8, -0.5, v0
	v_sub_f32_e32 v32, v11, v15
	v_mov_b32_e32 v0, v8
	v_fmac_f32_e32 v0, 0x3f5db3d7, v32
	v_fmac_f32_e32 v8, 0xbf5db3d7, v32
	v_add_f32_e32 v32, v15, v11
	v_fma_f32 v32, -0.5, v32, v9
	v_sub_f32_e32 v10, v10, v14
	v_mov_b32_e32 v33, v32
	v_fmac_f32_e32 v33, 0xbf5db3d7, v10
	v_fmac_f32_e32 v32, 0x3f5db3d7, v10
	v_and_b32_e32 v10, 1, v31
	v_mov_b32_e32 v31, 0x438
	v_cmp_eq_u32_e64 s[0:1], 1, v10
	v_add_f32_e32 v5, v16, v5
	v_add_f32_e32 v14, v14, v34
	v_cndmask_b32_e64 v10, 0, v31, s[0:1]
	v_mul_f32_e32 v31, 0.5, v0
	v_add_f32_e32 v35, v14, v5
	v_mul_f32_e32 v40, -0.5, v8
	v_sub_f32_e32 v38, v5, v14
	v_mul_u32_u24_e32 v5, 6, v30
	v_fmac_f32_e32 v31, 0x3f5db3d7, v33
	v_fmac_f32_e32 v40, 0x3f5db3d7, v32
	v_lshl_add_u32 v14, v5, 2, 0
	v_add_f32_e32 v37, v6, v40
	v_lshl_add_u32 v34, v10, 2, v14
	v_sub_f32_e32 v5, v39, v31
	v_sub_f32_e32 v6, v6, v40
	v_add_f32_e32 v36, v39, v31
	ds_write_b64 v34, v[5:6] offset:16
	v_add_f32_e32 v5, v26, v22
	ds_write2_b64 v34, v[35:36], v[37:38] offset1:1
	v_fma_f32 v38, -0.5, v5, v18
	v_sub_f32_e32 v5, v23, v27
	v_mov_b32_e32 v39, v38
	v_fmac_f32_e32 v39, 0x3f5db3d7, v5
	v_fmac_f32_e32 v38, 0xbf5db3d7, v5
	v_add_f32_e32 v5, v28, v24
	v_fma_f32 v31, -0.5, v5, v20
	v_sub_f32_e32 v5, v25, v29
	v_mov_b32_e32 v35, v31
	v_fmac_f32_e32 v35, 0x3f5db3d7, v5
	v_fmac_f32_e32 v31, 0xbf5db3d7, v5
	v_add_f32_e32 v5, v29, v25
	v_fma_f32 v36, -0.5, v5, v21
	v_sub_f32_e32 v5, v24, v28
	v_mov_b32_e32 v37, v36
	v_fmac_f32_e32 v37, 0xbf5db3d7, v5
	v_fmac_f32_e32 v36, 0x3f5db3d7, v5
	v_mul_f32_e32 v40, 0.5, v35
	v_mul_f32_e32 v41, -0.5, v31
	v_fmac_f32_e32 v40, 0x3f5db3d7, v37
	v_fmac_f32_e32 v41, 0x3f5db3d7, v36
	s_movk_i32 s0, 0x48
	v_sub_f32_e32 v5, v39, v40
	v_sub_f32_e32 v6, v38, v41
	v_cmp_gt_u32_e64 s[0:1], s0, v30
	s_and_saveexec_b64 s[2:3], s[0:1]
	s_cbranch_execz .LBB0_17
; %bb.16:
	v_add_f32_e32 v18, v22, v18
	v_add_f32_e32 v20, v24, v20
	;; [unrolled: 1-line block ×4, first 2 shown]
	v_sub_f32_e32 v42, v18, v20
	v_add_f32_e32 v41, v38, v41
	v_add_f32_e32 v39, v39, v40
	;; [unrolled: 1-line block ×3, first 2 shown]
	v_add_u32_e32 v18, 0xa20, v34
	ds_write2_b64 v18, v[38:39], v[41:42] offset1:1
	ds_write_b64 v34, v[5:6] offset:2608
.LBB0_17:
	s_or_b64 exec, exec, s[2:3]
	v_add_f32_e32 v18, v13, v7
	v_add_f32_e32 v13, v17, v13
	v_fmac_f32_e32 v7, -0.5, v13
	v_add_f32_e32 v9, v11, v9
	v_add_f32_e32 v18, v17, v18
	v_sub_f32_e32 v12, v12, v16
	v_mov_b32_e32 v13, v7
	v_add_f32_e32 v9, v15, v9
	v_mul_f32_e32 v0, 0xbf5db3d7, v0
	v_mul_f32_e32 v36, -0.5, v36
	v_fmac_f32_e32 v13, 0xbf5db3d7, v12
	v_add_f32_e32 v38, v9, v18
	v_fmac_f32_e32 v0, 0.5, v33
	v_sub_f32_e32 v41, v18, v9
	v_fmac_f32_e32 v36, 0xbf5db3d7, v31
	v_lshlrev_b32_e32 v31, 2, v10
	v_lshlrev_b32_e32 v9, 2, v30
	v_add_f32_e32 v39, v13, v0
	v_sub_f32_e32 v42, v13, v0
	v_add_f32_e32 v0, v27, v23
	v_add3_u32 v28, 0, v31, v9
	v_mul_i32_i24_e32 v9, 0xffffffec, v30
	v_mul_f32_e32 v11, -0.5, v32
	v_fma_f32 v32, -0.5, v0, v19
	v_sub_f32_e32 v0, v22, v26
	v_add3_u32 v26, v14, v9, v31
	v_fmac_f32_e32 v7, 0x3f5db3d7, v12
	v_fmac_f32_e32 v11, 0xbf5db3d7, v8
	v_add_u32_e32 v24, 0x400, v26
	v_add_u32_e32 v20, 0x800, v26
	v_add_u32_e32 v22, 0xa00, v26
	v_add_f32_e32 v40, v7, v11
	v_sub_f32_e32 v43, v7, v11
	s_waitcnt lgkmcnt(0)
	s_barrier
	ds_read2_b32 v[15:16], v26 offset0:108 offset1:216
	ds_read2_b32 v[13:14], v24 offset0:68 offset1:176
	;; [unrolled: 1-line block ×4, first 2 shown]
	ds_read_b32 v17, v28
	ds_read_b32 v18, v26 offset:3888
	v_mov_b32_e32 v33, v32
	v_mul_f32_e32 v35, 0xbf5db3d7, v35
	v_fmac_f32_e32 v33, 0xbf5db3d7, v0
	v_fmac_f32_e32 v32, 0x3f5db3d7, v0
	v_fmac_f32_e32 v35, 0.5, v37
	v_sub_f32_e32 v7, v33, v35
	v_sub_f32_e32 v8, v32, v36
	v_add_u32_e32 v0, 0x6c, v30
	s_waitcnt lgkmcnt(0)
	s_barrier
	ds_write2_b64 v34, v[38:39], v[40:41] offset1:1
	ds_write_b64 v34, v[42:43] offset:16
	s_and_saveexec_b64 s[2:3], s[0:1]
	s_cbranch_execz .LBB0_19
; %bb.18:
	v_add_f32_e32 v19, v23, v19
	v_add_f32_e32 v21, v25, v21
	;; [unrolled: 1-line block ×6, first 2 shown]
	v_sub_f32_e32 v33, v19, v21
	v_mul_u32_u24_e32 v19, 6, v0
	v_lshlrev_b32_e32 v19, 2, v19
	v_add_f32_e32 v32, v32, v36
	v_add3_u32 v19, 0, v19, v31
	ds_write2_b64 v19, v[34:35], v[32:33] offset1:1
	ds_write_b64 v19, v[7:8] offset:16
.LBB0_19:
	s_or_b64 exec, exec, s[2:3]
	s_movk_i32 s2, 0xab
	v_mul_lo_u16_sdwa v19, v30, s2 dst_sel:DWORD dst_unused:UNUSED_PAD src0_sel:BYTE_0 src1_sel:DWORD
	v_lshrrev_b16_e32 v27, 10, v19
	v_mul_lo_u16_e32 v19, 6, v27
	v_sub_u16_e32 v29, v30, v19
	v_mov_b32_e32 v19, 9
	v_mul_u32_u24_sdwa v19, v29, v19 dst_sel:DWORD dst_unused:UNUSED_PAD src0_sel:BYTE_0 src1_sel:DWORD
	v_lshlrev_b32_e32 v19, 3, v19
	s_waitcnt lgkmcnt(0)
	s_barrier
	global_load_dwordx4 v[38:41], v19, s[8:9]
	global_load_dwordx4 v[42:45], v19, s[8:9] offset:16
	global_load_dwordx4 v[46:49], v19, s[8:9] offset:32
	;; [unrolled: 1-line block ×3, first 2 shown]
	global_load_dwordx2 v[54:55], v19, s[8:9] offset:64
	ds_read2_b32 v[56:57], v26 offset0:108 offset1:216
	ds_read2_b32 v[58:59], v24 offset0:68 offset1:176
	;; [unrolled: 1-line block ×4, first 2 shown]
	ds_read_b32 v64, v26 offset:3888
	ds_read_b32 v19, v28
	s_movk_i32 s6, 0xf0
	s_mov_b32 s2, 0x3f737871
	s_mov_b32 s3, 0x3f167918
	s_waitcnt vmcnt(0) lgkmcnt(0)
	s_barrier
	s_mov_b32 s7, 0xbf737871
	v_mul_f32_e32 v22, v56, v39
	v_mul_f32_e32 v21, v15, v39
	;; [unrolled: 1-line block ×14, first 2 shown]
	v_fma_f32 v22, v15, v38, -v22
	v_fma_f32 v37, v16, v40, -v34
	v_fmac_f32_e32 v21, v56, v38
	v_fmac_f32_e32 v32, v57, v40
	v_fma_f32 v13, v13, v42, -v39
	v_fma_f32 v38, v14, v44, -v41
	;; [unrolled: 1-line block ×4, first 2 shown]
	v_mul_f32_e32 v25, v9, v51
	v_mul_f32_e32 v36, v10, v53
	;; [unrolled: 1-line block ×3, first 2 shown]
	v_fmac_f32_e32 v23, v58, v42
	v_fma_f32 v14, v11, v46, -v43
	v_fma_f32 v9, v9, v50, -v47
	v_add_f32_e32 v11, v38, v39
	v_add_f32_e32 v42, v37, v40
	v_mul_f32_e32 v34, v18, v55
	v_fmac_f32_e32 v33, v59, v44
	v_fmac_f32_e32 v24, v60, v46
	;; [unrolled: 1-line block ×4, first 2 shown]
	v_fma_f32 v10, v18, v54, -v15
	v_add_f32_e32 v15, v17, v37
	v_sub_f32_e32 v12, v37, v38
	v_sub_f32_e32 v41, v40, v39
	v_add_f32_e32 v45, v22, v13
	v_add_f32_e32 v46, v14, v9
	v_fma_f32 v49, -0.5, v11, v17
	v_fmac_f32_e32 v17, -0.5, v42
	v_fmac_f32_e32 v25, v62, v50
	v_fmac_f32_e32 v34, v64, v54
	v_sub_f32_e32 v16, v32, v36
	v_sub_f32_e32 v18, v33, v35
	;; [unrolled: 1-line block ×4, first 2 shown]
	v_add_f32_e32 v41, v12, v41
	v_add_f32_e32 v12, v45, v14
	v_fma_f32 v11, -0.5, v46, v22
	v_mov_b32_e32 v46, v49
	v_mov_b32_e32 v50, v17
	v_sub_f32_e32 v47, v23, v34
	v_add_f32_e32 v42, v43, v44
	v_fmac_f32_e32 v49, 0xbf737871, v16
	v_fmac_f32_e32 v17, 0x3f737871, v18
	v_add_f32_e32 v43, v12, v9
	v_mov_b32_e32 v12, v11
	v_fmac_f32_e32 v46, 0x3f737871, v16
	v_fmac_f32_e32 v50, 0xbf737871, v18
	v_sub_f32_e32 v48, v24, v25
	v_fmac_f32_e32 v49, 0xbf167918, v18
	v_fmac_f32_e32 v17, 0xbf167918, v16
	;; [unrolled: 1-line block ×5, first 2 shown]
	v_sub_f32_e32 v16, v13, v14
	v_sub_f32_e32 v18, v10, v9
	v_fmac_f32_e32 v11, 0xbf737871, v47
	v_fmac_f32_e32 v12, 0x3f167918, v48
	v_add_f32_e32 v16, v16, v18
	v_fmac_f32_e32 v11, 0xbf167918, v48
	v_fmac_f32_e32 v12, 0x3e9e377a, v16
	;; [unrolled: 1-line block ×3, first 2 shown]
	v_add_f32_e32 v16, v13, v10
	v_fmac_f32_e32 v22, -0.5, v16
	v_fmac_f32_e32 v49, 0x3e9e377a, v41
	v_fmac_f32_e32 v46, 0x3e9e377a, v41
	v_mov_b32_e32 v41, v22
	v_sub_f32_e32 v16, v14, v13
	v_sub_f32_e32 v18, v9, v10
	v_fmac_f32_e32 v41, 0xbf737871, v48
	v_fmac_f32_e32 v22, 0x3f737871, v48
	v_add_f32_e32 v16, v16, v18
	v_fmac_f32_e32 v41, 0x3f167918, v47
	v_fmac_f32_e32 v22, 0xbf167918, v47
	;; [unrolled: 1-line block ×4, first 2 shown]
	v_add_f32_e32 v16, v24, v25
	v_fmac_f32_e32 v17, 0x3e9e377a, v42
	v_fmac_f32_e32 v50, 0x3e9e377a, v42
	v_fma_f32 v42, -0.5, v16, v21
	v_add_f32_e32 v51, v43, v10
	v_sub_f32_e32 v10, v13, v10
	v_mov_b32_e32 v43, v42
	v_fmac_f32_e32 v43, 0xbf737871, v10
	v_sub_f32_e32 v9, v14, v9
	v_sub_f32_e32 v13, v23, v24
	;; [unrolled: 1-line block ×3, first 2 shown]
	v_fmac_f32_e32 v42, 0x3f737871, v10
	v_fmac_f32_e32 v43, 0xbf167918, v9
	v_add_f32_e32 v13, v13, v14
	v_fmac_f32_e32 v42, 0x3f167918, v9
	v_fmac_f32_e32 v43, 0x3e9e377a, v13
	v_fmac_f32_e32 v42, 0x3e9e377a, v13
	v_add_f32_e32 v13, v23, v34
	v_fma_f32 v44, -0.5, v13, v21
	v_mov_b32_e32 v45, v44
	v_sub_f32_e32 v13, v24, v23
	v_sub_f32_e32 v14, v25, v34
	v_fmac_f32_e32 v45, 0x3f737871, v9
	v_add_f32_e32 v13, v13, v14
	v_fmac_f32_e32 v45, 0xbf167918, v10
	v_fmac_f32_e32 v45, 0x3e9e377a, v13
	v_mul_f32_e32 v14, 0x3f737871, v45
	v_fmac_f32_e32 v44, 0xbf737871, v9
	v_fmac_f32_e32 v14, 0x3e9e377a, v41
	v_add_f32_e32 v15, v15, v38
	v_fmac_f32_e32 v44, 0x3f167918, v10
	v_mul_f32_e32 v9, 0x3f167918, v43
	v_sub_f32_e32 v10, v50, v14
	v_add_f32_e32 v16, v50, v14
	v_mov_b32_e32 v14, 2
	v_add_f32_e32 v15, v15, v39
	v_fmac_f32_e32 v9, 0x3f4f1bbd, v12
	v_lshlrev_b32_sdwa v14, v14, v29 dst_sel:DWORD dst_unused:UNUSED_PAD src0_sel:DWORD src1_sel:BYTE_0
	v_add_f32_e32 v15, v15, v40
	v_mad_u32_u24 v18, v27, s6, 0
	v_fmac_f32_e32 v44, 0x3e9e377a, v13
	v_add_f32_e32 v13, v46, v9
	v_sub_f32_e32 v9, v46, v9
	v_add3_u32 v46, v18, v14, v31
	v_add_f32_e32 v14, v15, v51
	ds_write2_b32 v46, v14, v13 offset1:6
	v_mul_f32_e32 v13, 0x3e9e377a, v22
	v_mul_f32_e32 v14, 0x3f4f1bbd, v11
	v_fma_f32 v13, v44, s2, -v13
	v_fma_f32 v18, v42, s3, -v14
	v_add_f32_e32 v27, v17, v13
	v_sub_f32_e32 v13, v17, v13
	v_add_f32_e32 v17, v49, v18
	v_sub_f32_e32 v15, v15, v51
	v_add_u32_e32 v47, 0x200, v26
	v_sub_f32_e32 v14, v49, v18
	ds_write2_b32 v46, v16, v27 offset0:12 offset1:18
	ds_write2_b32 v46, v17, v15 offset0:24 offset1:30
	;; [unrolled: 1-line block ×4, first 2 shown]
	s_waitcnt lgkmcnt(0)
	s_barrier
	ds_read2_b32 v[17:18], v47 offset0:52 offset1:232
	ds_read2_b32 v[15:16], v20 offset0:28 offset1:208
	ds_read_b32 v27, v28
	ds_read_b32 v29, v26 offset:3600
	s_mov_b32 s6, 0xbf167918
	s_and_saveexec_b64 s[2:3], s[0:1]
	s_cbranch_execz .LBB0_21
; %bb.20:
	v_add_u32_e32 v5, 0x100, v26
	ds_read2_b32 v[9:10], v5 offset0:44 offset1:224
	v_add_u32_e32 v5, 0x700, v26
	ds_read2_b32 v[13:14], v5 offset0:20 offset1:200
	;; [unrolled: 2-line block ×3, first 2 shown]
.LBB0_21:
	s_or_b64 exec, exec, s[2:3]
	v_add_f32_e32 v48, v33, v35
	v_fma_f32 v48, -0.5, v48, v19
	v_sub_f32_e32 v37, v37, v40
	v_mov_b32_e32 v40, v48
	v_fmac_f32_e32 v40, 0xbf737871, v37
	v_sub_f32_e32 v38, v38, v39
	v_sub_f32_e32 v39, v32, v33
	;; [unrolled: 1-line block ×3, first 2 shown]
	v_fmac_f32_e32 v48, 0x3f737871, v37
	v_fmac_f32_e32 v40, 0xbf167918, v38
	v_add_f32_e32 v39, v39, v49
	v_fmac_f32_e32 v48, 0x3f167918, v38
	v_fmac_f32_e32 v40, 0x3e9e377a, v39
	;; [unrolled: 1-line block ×3, first 2 shown]
	v_add_f32_e32 v39, v32, v36
	v_add_f32_e32 v20, v19, v32
	v_fmac_f32_e32 v19, -0.5, v39
	v_add_f32_e32 v21, v21, v23
	v_add_f32_e32 v20, v20, v33
	v_mov_b32_e32 v39, v19
	v_add_f32_e32 v21, v21, v24
	v_add_f32_e32 v20, v20, v35
	v_fmac_f32_e32 v39, 0x3f737871, v38
	v_sub_f32_e32 v32, v33, v32
	v_sub_f32_e32 v33, v35, v36
	v_fmac_f32_e32 v19, 0xbf737871, v38
	v_add_f32_e32 v21, v21, v25
	v_mul_f32_e32 v12, 0xbf167918, v12
	v_add_f32_e32 v20, v20, v36
	v_fmac_f32_e32 v39, 0xbf167918, v37
	v_add_f32_e32 v32, v32, v33
	v_fmac_f32_e32 v19, 0x3f167918, v37
	;; [unrolled: 2-line block ×3, first 2 shown]
	v_mul_f32_e32 v25, 0xbf737871, v41
	v_mul_f32_e32 v33, 0x3e9e377a, v44
	;; [unrolled: 1-line block ×3, first 2 shown]
	v_fmac_f32_e32 v39, 0x3e9e377a, v32
	v_fmac_f32_e32 v19, 0x3e9e377a, v32
	v_add_f32_e32 v23, v20, v21
	v_add_f32_e32 v24, v40, v12
	v_fmac_f32_e32 v25, 0x3e9e377a, v45
	v_fma_f32 v22, v22, s7, -v33
	v_fma_f32 v34, v11, s6, -v34
	v_sub_f32_e32 v21, v20, v21
	v_add_f32_e32 v32, v39, v25
	v_add_f32_e32 v33, v19, v22
	;; [unrolled: 1-line block ×3, first 2 shown]
	v_sub_f32_e32 v11, v40, v12
	v_sub_f32_e32 v12, v39, v25
	;; [unrolled: 1-line block ×4, first 2 shown]
	s_waitcnt lgkmcnt(0)
	s_barrier
	ds_write2_b32 v46, v23, v24 offset1:6
	ds_write2_b32 v46, v32, v33 offset0:12 offset1:18
	ds_write2_b32 v46, v35, v21 offset0:24 offset1:30
	;; [unrolled: 1-line block ×4, first 2 shown]
	v_add_u32_e32 v21, 0x800, v26
	s_waitcnt lgkmcnt(0)
	s_barrier
	ds_read2_b32 v[23:24], v47 offset0:52 offset1:232
	ds_read2_b32 v[21:22], v21 offset0:28 offset1:208
	ds_read_b32 v25, v28
	ds_read_b32 v34, v26 offset:3600
	s_and_saveexec_b64 s[2:3], s[0:1]
	s_cbranch_execz .LBB0_23
; %bb.22:
	v_add_u32_e32 v7, 0x100, v26
	ds_read2_b32 v[11:12], v7 offset0:44 offset1:224
	v_add_u32_e32 v7, 0x700, v26
	ds_read2_b32 v[19:20], v7 offset0:20 offset1:200
	;; [unrolled: 2-line block ×3, first 2 shown]
.LBB0_23:
	s_or_b64 exec, exec, s[2:3]
	v_subrev_u32_e32 v32, 60, v30
	v_cmp_gt_u32_e64 s[2:3], 60, v30
	v_cndmask_b32_e64 v61, v32, v30, s[2:3]
	v_mul_i32_i24_e32 v32, 5, v61
	v_mov_b32_e32 v33, 0
	v_lshlrev_b64 v[32:33], 3, v[32:33]
	v_mov_b32_e32 v35, s9
	v_add_co_u32_e64 v32, s[2:3], s8, v32
	v_addc_co_u32_e64 v33, s[2:3], v35, v33, s[2:3]
	s_movk_i32 s2, 0x89
	global_load_dwordx4 v[41:44], v[32:33], off offset:432
	global_load_dwordx4 v[45:48], v[32:33], off offset:448
	global_load_dwordx2 v[57:58], v[32:33], off offset:464
	v_mul_lo_u16_sdwa v33, v0, s2 dst_sel:DWORD dst_unused:UNUSED_PAD src0_sel:BYTE_0 src1_sel:DWORD
	v_lshrrev_b16_e32 v35, 13, v33
	v_mul_lo_u16_e32 v33, 60, v35
	v_mov_b32_e32 v32, 5
	v_sub_u16_e32 v36, v0, v33
	v_mul_u32_u24_sdwa v32, v36, v32 dst_sel:DWORD dst_unused:UNUSED_PAD src0_sel:BYTE_0 src1_sel:DWORD
	v_lshlrev_b32_e32 v32, 3, v32
	global_load_dwordx4 v[49:52], v32, s[8:9] offset:432
	global_load_dwordx4 v[53:56], v32, s[8:9] offset:448
	global_load_dwordx2 v[59:60], v32, s[8:9] offset:464
	v_cmp_lt_u32_e64 s[2:3], 59, v30
	s_waitcnt vmcnt(0) lgkmcnt(0)
	s_barrier
	s_movk_i32 s6, 0x5a0
	v_mul_f32_e32 v33, v23, v42
	v_mul_f32_e32 v32, v17, v42
	;; [unrolled: 1-line block ×10, first 2 shown]
	v_fma_f32 v33, v17, v41, -v33
	v_fmac_f32_e32 v32, v23, v41
	v_fma_f32 v41, v18, v43, -v42
	v_fma_f32 v15, v15, v45, -v44
	v_fmac_f32_e32 v37, v21, v45
	v_fma_f32 v42, v16, v47, -v46
	v_fmac_f32_e32 v40, v22, v47
	v_fmac_f32_e32 v38, v34, v57
	v_mul_f32_e32 v17, v12, v50
	v_mul_f32_e32 v22, v13, v52
	;; [unrolled: 1-line block ×4, first 2 shown]
	v_fmac_f32_e32 v39, v24, v43
	v_fma_f32 v16, v29, v57, -v48
	v_mul_f32_e32 v18, v10, v50
	v_mul_f32_e32 v29, v19, v52
	;; [unrolled: 1-line block ×5, first 2 shown]
	v_fma_f32 v23, v10, v49, -v17
	v_fmac_f32_e32 v22, v19, v51
	v_fma_f32 v19, v5, v55, -v45
	v_fma_f32 v5, v6, v59, -v46
	v_add_f32_e32 v6, v27, v41
	v_add_f32_e32 v17, v37, v38
	v_mul_f32_e32 v34, v20, v54
	v_fmac_f32_e32 v18, v12, v49
	v_fmac_f32_e32 v21, v20, v53
	v_fmac_f32_e32 v24, v8, v59
	v_add_f32_e32 v8, v33, v15
	v_add_f32_e32 v12, v15, v16
	;; [unrolled: 1-line block ×3, first 2 shown]
	v_fma_f32 v6, -0.5, v17, v32
	v_fmac_f32_e32 v43, v7, v55
	v_add_f32_e32 v7, v41, v42
	v_sub_f32_e32 v15, v15, v16
	v_add_f32_e32 v16, v8, v16
	v_fmac_f32_e32 v33, -0.5, v12
	v_mov_b32_e32 v8, v6
	v_fma_f32 v44, v13, v51, -v29
	v_sub_f32_e32 v13, v37, v38
	v_fmac_f32_e32 v27, -0.5, v7
	v_mov_b32_e32 v7, v33
	v_fmac_f32_e32 v8, 0xbf5db3d7, v15
	v_sub_f32_e32 v10, v39, v40
	v_mov_b32_e32 v12, v27
	v_fmac_f32_e32 v33, 0xbf5db3d7, v13
	v_fmac_f32_e32 v7, 0x3f5db3d7, v13
	v_mul_f32_e32 v13, 0x3f5db3d7, v8
	v_fmac_f32_e32 v27, 0xbf5db3d7, v10
	v_fmac_f32_e32 v6, 0x3f5db3d7, v15
	;; [unrolled: 1-line block ×3, first 2 shown]
	v_mul_f32_e32 v10, -0.5, v33
	v_fmac_f32_e32 v13, 0.5, v7
	v_fmac_f32_e32 v10, 0x3f5db3d7, v6
	v_add_f32_e32 v48, v12, v13
	v_sub_f32_e32 v49, v12, v13
	v_add_f32_e32 v12, v44, v19
	v_fma_f32 v14, v14, v53, -v34
	v_add_f32_e32 v34, v27, v10
	v_sub_f32_e32 v50, v27, v10
	v_add_f32_e32 v10, v9, v44
	v_fmac_f32_e32 v9, -0.5, v12
	v_sub_f32_e32 v13, v22, v43
	v_mov_b32_e32 v12, v9
	v_add_f32_e32 v15, v14, v5
	v_fmac_f32_e32 v12, 0x3f5db3d7, v13
	v_fmac_f32_e32 v9, 0xbf5db3d7, v13
	v_add_f32_e32 v13, v23, v14
	v_fmac_f32_e32 v23, -0.5, v15
	v_add_f32_e32 v17, v20, v16
	v_sub_f32_e32 v16, v20, v16
	v_sub_f32_e32 v15, v21, v24
	v_mov_b32_e32 v20, v23
	v_fmac_f32_e32 v20, 0x3f5db3d7, v15
	v_fmac_f32_e32 v23, 0xbf5db3d7, v15
	v_add_f32_e32 v15, v21, v24
	v_fma_f32 v45, -0.5, v15, v18
	v_add_f32_e32 v13, v13, v5
	v_sub_f32_e32 v5, v14, v5
	v_mov_b32_e32 v46, v45
	v_mov_b32_e32 v47, 0x5a0
	v_fmac_f32_e32 v46, 0xbf5db3d7, v5
	v_cndmask_b32_e64 v47, 0, v47, s[2:3]
	v_fmac_f32_e32 v45, 0x3f5db3d7, v5
	v_mul_f32_e32 v14, 0x3f5db3d7, v46
	v_mul_f32_e32 v15, -0.5, v23
	v_add_u32_e32 v47, 0, v47
	v_lshlrev_b32_e32 v51, 2, v61
	v_add_f32_e32 v10, v10, v19
	v_fmac_f32_e32 v14, 0.5, v20
	v_fmac_f32_e32 v15, 0x3f5db3d7, v45
	v_add3_u32 v47, v47, v51, v31
	v_sub_f32_e32 v5, v10, v13
	v_sub_f32_e32 v29, v12, v14
	;; [unrolled: 1-line block ×3, first 2 shown]
	ds_write2_b32 v47, v17, v48 offset1:60
	ds_write2_b32 v47, v34, v16 offset0:120 offset1:180
	v_add_u32_e32 v16, 0x200, v47
	ds_write2_b32 v16, v49, v50 offset0:112 offset1:172
	s_and_saveexec_b64 s[2:3], s[0:1]
	s_cbranch_execz .LBB0_25
; %bb.24:
	v_add_f32_e32 v12, v12, v14
	v_mov_b32_e32 v14, 2
	v_add_f32_e32 v10, v10, v13
	v_mad_u32_u24 v13, v35, s6, 0
	v_lshlrev_b32_sdwa v14, v14, v36 dst_sel:DWORD dst_unused:UNUSED_PAD src0_sel:DWORD src1_sel:BYTE_0
	v_add_f32_e32 v9, v9, v15
	v_add3_u32 v13, v13, v14, v31
	ds_write2_b32 v13, v10, v12 offset1:60
	ds_write2_b32 v13, v9, v5 offset0:120 offset1:180
	v_add_u32_e32 v9, 0x200, v13
	ds_write2_b32 v9, v29, v27 offset0:112 offset1:172
.LBB0_25:
	s_or_b64 exec, exec, s[2:3]
	v_add_u32_e32 v9, 0x400, v26
	s_waitcnt lgkmcnt(0)
	s_barrier
	ds_read2_b32 v[12:13], v9 offset0:104 offset1:212
	v_add_u32_e32 v9, 0x800, v26
	v_add_u32_e32 v14, 0xc00, v26
	ds_read_b32 v34, v28
	ds_read2_b32 v[16:17], v9 offset0:64 offset1:208
	ds_read2_b32 v[9:10], v26 offset0:108 offset1:216
	;; [unrolled: 1-line block ×3, first 2 shown]
	v_cmp_gt_u32_e64 s[2:3], 36, v30
	s_and_saveexec_b64 s[6:7], s[2:3]
	s_cbranch_execz .LBB0_27
; %bb.26:
	ds_read_b32 v5, v26 offset:1296
	ds_read_b32 v29, v26 offset:2736
	;; [unrolled: 1-line block ×3, first 2 shown]
.LBB0_27:
	s_or_b64 exec, exec, s[6:7]
	v_add_f32_e32 v48, v25, v39
	v_add_f32_e32 v39, v39, v40
	v_fmac_f32_e32 v25, -0.5, v39
	v_sub_f32_e32 v39, v41, v42
	v_mul_f32_e32 v6, -0.5, v6
	v_add_f32_e32 v48, v48, v40
	v_mov_b32_e32 v40, v25
	v_fmac_f32_e32 v25, 0x3f5db3d7, v39
	v_mul_f32_e32 v7, 0xbf5db3d7, v7
	v_fmac_f32_e32 v6, 0xbf5db3d7, v33
	v_fmac_f32_e32 v40, 0xbf5db3d7, v39
	v_add_f32_e32 v32, v32, v37
	v_fmac_f32_e32 v7, 0.5, v8
	v_add_f32_e32 v39, v25, v6
	v_sub_f32_e32 v25, v25, v6
	v_add_f32_e32 v6, v11, v22
	v_add_f32_e32 v32, v32, v38
	;; [unrolled: 1-line block ×3, first 2 shown]
	v_sub_f32_e32 v40, v40, v7
	v_add_f32_e32 v7, v6, v43
	v_add_f32_e32 v6, v22, v43
	v_fmac_f32_e32 v11, -0.5, v6
	v_sub_f32_e32 v6, v44, v19
	v_mov_b32_e32 v8, v11
	v_fmac_f32_e32 v8, 0xbf5db3d7, v6
	v_fmac_f32_e32 v11, 0x3f5db3d7, v6
	v_add_f32_e32 v6, v18, v21
	v_mul_f32_e32 v19, 0xbf5db3d7, v20
	v_mul_f32_e32 v20, -0.5, v45
	v_add_f32_e32 v18, v6, v24
	v_fmac_f32_e32 v19, 0.5, v46
	v_fmac_f32_e32 v20, 0xbf5db3d7, v23
	v_add_f32_e32 v37, v48, v32
	v_sub_f32_e32 v41, v48, v32
	v_sub_f32_e32 v6, v7, v18
	;; [unrolled: 1-line block ×4, first 2 shown]
	v_add_u32_e32 v21, 0x200, v47
	s_waitcnt lgkmcnt(0)
	s_barrier
	ds_write2_b32 v47, v37, v38 offset1:60
	ds_write2_b32 v47, v39, v41 offset0:120 offset1:180
	ds_write2_b32 v21, v40, v25 offset0:112 offset1:172
	s_and_saveexec_b64 s[6:7], s[0:1]
	s_cbranch_execz .LBB0_29
; %bb.28:
	v_add_f32_e32 v8, v8, v19
	s_movk_i32 s0, 0x5a0
	v_mov_b32_e32 v19, 2
	v_add_f32_e32 v7, v7, v18
	v_mad_u32_u24 v18, v35, s0, 0
	v_lshlrev_b32_sdwa v19, v19, v36 dst_sel:DWORD dst_unused:UNUSED_PAD src0_sel:DWORD src1_sel:BYTE_0
	v_add3_u32 v18, v18, v19, v31
	v_add_f32_e32 v11, v11, v20
	ds_write2_b32 v18, v7, v8 offset1:60
	ds_write2_b32 v18, v11, v6 offset0:120 offset1:180
	v_add_u32_e32 v7, 0x200, v18
	ds_write2_b32 v7, v33, v32 offset0:112 offset1:172
.LBB0_29:
	s_or_b64 exec, exec, s[6:7]
	v_add_u32_e32 v7, 0x400, v26
	s_waitcnt lgkmcnt(0)
	s_barrier
	ds_read2_b32 v[20:21], v7 offset0:104 offset1:212
	v_add_u32_e32 v7, 0x800, v26
	ds_read_b32 v11, v28
	ds_read2_b32 v[24:25], v7 offset0:64 offset1:208
	ds_read2_b32 v[18:19], v26 offset0:108 offset1:216
	v_add_u32_e32 v7, 0xc00, v26
	ds_read2_b32 v[22:23], v7 offset0:60 offset1:168
	s_and_saveexec_b64 s[0:1], s[2:3]
	s_cbranch_execz .LBB0_31
; %bb.30:
	ds_read_b32 v6, v26 offset:1296
	ds_read_b32 v33, v26 offset:2736
	ds_read_b32 v32, v26 offset:4176
.LBB0_31:
	s_or_b64 exec, exec, s[0:1]
	s_and_saveexec_b64 s[0:1], vcc
	s_cbranch_execz .LBB0_34
; %bb.32:
	v_lshlrev_b32_e32 v39, 1, v30
	v_add_u32_e32 v7, 0x1b0, v39
	v_mov_b32_e32 v8, 0
	v_lshlrev_b64 v[35:36], 3, v[7:8]
	v_mov_b32_e32 v40, v8
	v_mov_b32_e32 v26, s9
	v_add_co_u32_e32 v35, vcc, s8, v35
	v_lshlrev_b64 v[39:40], 3, v[39:40]
	v_addc_co_u32_e32 v36, vcc, v26, v36, vcc
	v_lshlrev_b32_e32 v7, 1, v0
	v_add_co_u32_e32 v39, vcc, s8, v39
	v_lshlrev_b64 v[43:44], 3, v[7:8]
	v_addc_co_u32_e32 v40, vcc, v26, v40, vcc
	v_add_co_u32_e32 v43, vcc, s8, v43
	global_load_dwordx4 v[35:38], v[35:36], off offset:2832
	v_addc_co_u32_e32 v44, vcc, v26, v44, vcc
	global_load_dwordx4 v[39:42], v[39:40], off offset:2832
	v_mul_lo_u32 v0, s5, v3
	global_load_dwordx4 v[43:46], v[43:44], off offset:2832
	v_mul_lo_u32 v7, s4, v4
	v_mad_u64_u32 v[3:4], s[0:1], s4, v3, 0
	s_mov_b32 s4, 0x16c16c17
	s_movk_i32 s6, 0x438
	v_add3_u32 v4, v4, v7, v0
	v_lshlrev_b64 v[3:4], 3, v[3:4]
	s_movk_i32 s5, 0x168
	s_waitcnt vmcnt(2) lgkmcnt(2)
	v_mul_f32_e32 v0, v24, v36
	s_waitcnt lgkmcnt(0)
	v_mul_f32_e32 v7, v23, v38
	v_mul_f32_e32 v26, v16, v36
	;; [unrolled: 1-line block ×3, first 2 shown]
	s_waitcnt vmcnt(1)
	v_mul_f32_e32 v31, v20, v40
	v_mul_f32_e32 v38, v12, v40
	v_mul_f32_e32 v40, v17, v42
	v_fma_f32 v0, v16, v35, -v0
	v_fma_f32 v7, v15, v37, -v7
	v_fmac_f32_e32 v26, v24, v35
	v_fmac_f32_e32 v28, v23, v37
	s_waitcnt vmcnt(0)
	v_mul_f32_e32 v23, v13, v44
	v_mul_f32_e32 v24, v14, v46
	;; [unrolled: 1-line block ×5, first 2 shown]
	v_fma_f32 v31, v12, v39, -v31
	v_fmac_f32_e32 v38, v20, v39
	v_fmac_f32_e32 v40, v25, v41
	v_sub_f32_e32 v25, v0, v7
	v_add_f32_e32 v12, v26, v28
	v_add_f32_e32 v20, v0, v7
	;; [unrolled: 1-line block ×3, first 2 shown]
	v_fmac_f32_e32 v23, v21, v43
	v_fmac_f32_e32 v24, v22, v45
	v_fma_f32 v42, v17, v41, -v36
	v_add_f32_e32 v17, v19, v26
	v_fma_f32 v35, v13, v43, -v15
	v_fma_f32 v36, v14, v45, -v16
	v_fma_f32 v13, -0.5, v12, v19
	v_add_f32_e32 v14, v0, v7
	v_add_f32_e32 v7, v23, v24
	;; [unrolled: 1-line block ×3, first 2 shown]
	v_mov_b32_e32 v17, v13
	v_fma_f32 v19, -0.5, v7, v18
	v_sub_f32_e32 v0, v35, v36
	v_fmac_f32_e32 v13, 0xbf5db3d7, v25
	v_fmac_f32_e32 v17, 0x3f5db3d7, v25
	v_mov_b32_e32 v25, v19
	v_fmac_f32_e32 v19, 0xbf5db3d7, v0
	v_fmac_f32_e32 v25, 0x3f5db3d7, v0
	v_lshrrev_b32_e32 v0, 3, v30
	v_mul_hi_u32 v0, v0, s4
	v_add_f32_e32 v16, v38, v40
	v_add_f32_e32 v37, v11, v38
	v_fma_f32 v12, -0.5, v20, v10
	v_lshrrev_b32_e32 v0, 2, v0
	v_mul_u32_u24_e32 v0, 0x168, v0
	v_add_f32_e32 v20, v18, v23
	v_sub_f32_e32 v39, v23, v24
	v_add_f32_e32 v23, v9, v35
	v_fma_f32 v10, -0.5, v16, v11
	v_sub_u32_e32 v11, v30, v0
	v_sub_f32_e32 v26, v26, v28
	v_add_f32_e32 v28, v35, v36
	v_add_f32_e32 v21, v20, v24
	;; [unrolled: 1-line block ×4, first 2 shown]
	v_mad_u64_u32 v[36:37], s[0:1], s20, v11, 0
	v_add_f32_e32 v7, v31, v42
	v_sub_f32_e32 v22, v31, v42
	v_fma_f32 v18, -0.5, v28, v9
	v_mov_b32_e32 v23, v10
	v_fma_f32 v9, -0.5, v7, v34
	v_mov_b32_e32 v0, v37
	v_fmac_f32_e32 v10, 0xbf5db3d7, v22
	v_fmac_f32_e32 v23, 0x3f5db3d7, v22
	v_sub_f32_e32 v7, v38, v40
	v_mov_b32_e32 v22, v9
	v_mad_u64_u32 v[37:38], s[0:1], s21, v11, v[0:1]
	v_add_f32_e32 v0, v34, v31
	v_fmac_f32_e32 v22, 0xbf5db3d7, v7
	v_fmac_f32_e32 v9, 0x3f5db3d7, v7
	v_add_f32_e32 v34, v0, v42
	v_mov_b32_e32 v0, s15
	v_add_co_u32_e32 v7, vcc, s14, v3
	v_addc_co_u32_e32 v4, vcc, v0, v4, vcc
	v_lshlrev_b64 v[0:1], 3, v[1:2]
	v_lshlrev_b64 v[36:37], 3, v[36:37]
	v_add_co_u32_e32 v0, vcc, v7, v0
	v_mov_b32_e32 v16, v12
	v_addc_co_u32_e32 v1, vcc, v4, v1, vcc
	v_fmac_f32_e32 v12, 0x3f5db3d7, v26
	v_fmac_f32_e32 v16, 0xbf5db3d7, v26
	v_add_u32_e32 v26, 0x168, v11
	v_add_co_u32_e32 v36, vcc, v0, v36
	v_mad_u64_u32 v[2:3], s[0:1], s20, v26, 0
	v_addc_co_u32_e32 v37, vcc, v1, v37, vcc
	v_add_u32_e32 v7, 0x2d0, v11
	global_store_dwordx2 v[36:37], v[34:35], off
	v_mad_u64_u32 v[34:35], s[0:1], s20, v7, 0
	v_mad_u64_u32 v[3:4], s[0:1], s21, v26, v[3:4]
	v_mov_b32_e32 v4, v35
	v_mad_u64_u32 v[35:36], s[0:1], s21, v7, v[4:5]
	v_add_u32_e32 v4, 0x6c, v30
	v_lshrrev_b32_e32 v7, 3, v4
	v_mul_hi_u32 v7, v7, s4
	v_lshlrev_b64 v[2:3], 3, v[2:3]
	v_mov_b32_e32 v24, v18
	v_add_co_u32_e32 v2, vcc, v0, v2
	v_addc_co_u32_e32 v3, vcc, v1, v3, vcc
	v_lshrrev_b32_e32 v7, 2, v7
	global_store_dwordx2 v[2:3], v[9:10], off
	v_mul_u32_u24_e32 v9, 0x168, v7
	v_sub_u32_e32 v4, v4, v9
	v_mad_u32_u24 v7, v7, s6, v4
	v_mad_u64_u32 v[9:10], s[0:1], s20, v7, 0
	v_lshlrev_b64 v[2:3], 3, v[34:35]
	v_fmac_f32_e32 v18, 0x3f5db3d7, v39
	v_mov_b32_e32 v4, v10
	v_mad_u64_u32 v[10:11], s[0:1], s21, v7, v[4:5]
	v_add_u32_e32 v11, 0x168, v7
	v_mad_u64_u32 v[34:35], s[0:1], s20, v11, 0
	v_add_co_u32_e32 v2, vcc, v0, v2
	v_addc_co_u32_e32 v3, vcc, v1, v3, vcc
	global_store_dwordx2 v[2:3], v[22:23], off
	v_lshlrev_b64 v[2:3], 3, v[9:10]
	v_mov_b32_e32 v4, v35
	v_mad_u64_u32 v[9:10], s[0:1], s21, v11, v[4:5]
	v_add_co_u32_e32 v2, vcc, v0, v2
	v_addc_co_u32_e32 v3, vcc, v1, v3, vcc
	global_store_dwordx2 v[2:3], v[20:21], off
	v_add_u32_e32 v7, 0x2d0, v7
	v_add_u32_e32 v20, 0xd8, v30
	v_mov_b32_e32 v35, v9
	v_mad_u64_u32 v[9:10], s[0:1], s20, v7, 0
	v_lshrrev_b32_e32 v4, 3, v20
	v_mul_hi_u32 v21, v4, s4
	v_mov_b32_e32 v4, v10
	v_mad_u64_u32 v[10:11], s[0:1], s21, v7, v[4:5]
	v_lshrrev_b32_e32 v4, 2, v21
	v_mul_u32_u24_e32 v7, 0x168, v4
	v_sub_u32_e32 v7, v20, v7
	v_mad_u32_u24 v7, v4, s6, v7
	v_mad_u64_u32 v[20:21], s[0:1], s20, v7, 0
	v_lshlrev_b64 v[2:3], 3, v[34:35]
	v_add_u32_e32 v11, 0x168, v7
	v_add_co_u32_e32 v2, vcc, v0, v2
	v_addc_co_u32_e32 v3, vcc, v1, v3, vcc
	v_mov_b32_e32 v4, v21
	global_store_dwordx2 v[2:3], v[18:19], off
	v_lshlrev_b64 v[2:3], 3, v[9:10]
	v_mad_u64_u32 v[9:10], s[0:1], s21, v7, v[4:5]
	v_add_co_u32_e32 v2, vcc, v0, v2
	v_mov_b32_e32 v21, v9
	v_mad_u64_u32 v[9:10], s[0:1], s20, v11, 0
	v_add_u32_e32 v7, 0x2d0, v7
	v_fmac_f32_e32 v24, 0xbf5db3d7, v39
	v_addc_co_u32_e32 v3, vcc, v1, v3, vcc
	v_mov_b32_e32 v4, v10
	v_mad_u64_u32 v[18:19], s[0:1], s20, v7, 0
	global_store_dwordx2 v[2:3], v[24:25], off
	v_lshlrev_b64 v[2:3], 3, v[20:21]
	v_mad_u64_u32 v[10:11], s[0:1], s21, v11, v[4:5]
	v_add_co_u32_e32 v2, vcc, v0, v2
	v_addc_co_u32_e32 v3, vcc, v1, v3, vcc
	v_mov_b32_e32 v4, v19
	global_store_dwordx2 v[2:3], v[14:15], off
	v_lshlrev_b64 v[2:3], 3, v[9:10]
	v_mad_u64_u32 v[9:10], s[0:1], s21, v7, v[4:5]
	v_add_co_u32_e32 v2, vcc, v0, v2
	v_addc_co_u32_e32 v3, vcc, v1, v3, vcc
	v_mov_b32_e32 v19, v9
	global_store_dwordx2 v[2:3], v[12:13], off
	v_lshlrev_b64 v[2:3], 3, v[18:19]
	v_add_co_u32_e32 v2, vcc, v0, v2
	v_addc_co_u32_e32 v3, vcc, v1, v3, vcc
	global_store_dwordx2 v[2:3], v[16:17], off
	v_add_u32_e32 v2, 0x144, v30
	v_cmp_gt_u32_e32 vcc, s5, v2
	s_and_b64 exec, exec, vcc
	s_cbranch_execz .LBB0_34
; %bb.33:
	v_not_b32_e32 v3, 35
	v_mov_b32_e32 v4, 0x144
	v_cndmask_b32_e64 v3, v3, v4, s[2:3]
	v_add_lshl_u32 v7, v30, v3, 1
	v_lshlrev_b64 v[3:4], 3, v[7:8]
	v_mov_b32_e32 v7, s9
	v_add_co_u32_e32 v3, vcc, s8, v3
	v_addc_co_u32_e32 v4, vcc, v7, v4, vcc
	global_load_dwordx4 v[7:10], v[3:4], off offset:2832
	v_mad_u64_u32 v[3:4], s[0:1], s20, v2, 0
	v_add_u32_e32 v17, 0x2ac, v30
	v_mad_u64_u32 v[11:12], s[0:1], s20, v17, 0
	v_add_u32_e32 v18, 0x414, v30
	v_mad_u64_u32 v[13:14], s[0:1], s20, v18, 0
	v_mad_u64_u32 v[15:16], s[0:1], s21, v2, v[4:5]
	v_mov_b32_e32 v2, v12
	v_mad_u64_u32 v[16:17], s[0:1], s21, v17, v[2:3]
	v_mov_b32_e32 v4, v14
	;; [unrolled: 2-line block ×3, first 2 shown]
	v_lshlrev_b64 v[2:3], 3, v[3:4]
	v_mov_b32_e32 v12, v16
	v_lshlrev_b64 v[11:12], 3, v[11:12]
	v_add_co_u32_e32 v2, vcc, v0, v2
	v_mov_b32_e32 v14, v17
	v_addc_co_u32_e32 v3, vcc, v1, v3, vcc
	v_lshlrev_b64 v[13:14], 3, v[13:14]
	v_add_co_u32_e32 v11, vcc, v0, v11
	v_addc_co_u32_e32 v12, vcc, v1, v12, vcc
	v_add_co_u32_e32 v0, vcc, v0, v13
	v_addc_co_u32_e32 v1, vcc, v1, v14, vcc
	s_waitcnt vmcnt(0)
	v_mul_f32_e32 v4, v33, v8
	v_mul_f32_e32 v8, v29, v8
	;; [unrolled: 1-line block ×4, first 2 shown]
	v_fma_f32 v4, v29, v7, -v4
	v_fmac_f32_e32 v8, v33, v7
	v_fma_f32 v7, v27, v9, -v13
	v_fmac_f32_e32 v10, v32, v9
	v_add_f32_e32 v13, v4, v7
	v_add_f32_e32 v16, v8, v10
	;; [unrolled: 1-line block ×4, first 2 shown]
	v_fmac_f32_e32 v5, -0.5, v13
	v_fmac_f32_e32 v6, -0.5, v16
	v_sub_f32_e32 v14, v8, v10
	v_sub_f32_e32 v4, v4, v7
	v_add_f32_e32 v7, v9, v7
	v_add_f32_e32 v8, v15, v10
	v_mov_b32_e32 v9, v5
	v_mov_b32_e32 v10, v6
	v_fmac_f32_e32 v9, 0x3f5db3d7, v14
	v_fmac_f32_e32 v10, 0xbf5db3d7, v4
	;; [unrolled: 1-line block ×4, first 2 shown]
	global_store_dwordx2 v[2:3], v[7:8], off
	global_store_dwordx2 v[11:12], v[9:10], off
	;; [unrolled: 1-line block ×3, first 2 shown]
.LBB0_34:
	s_endpgm
	.section	.rodata,"a",@progbits
	.p2align	6, 0x0
	.amdhsa_kernel fft_rtc_fwd_len1080_factors_6_10_6_3_wgs_216_tpt_108_halfLds_sp_op_CI_CI_sbrr_dirReg
		.amdhsa_group_segment_fixed_size 0
		.amdhsa_private_segment_fixed_size 0
		.amdhsa_kernarg_size 104
		.amdhsa_user_sgpr_count 6
		.amdhsa_user_sgpr_private_segment_buffer 1
		.amdhsa_user_sgpr_dispatch_ptr 0
		.amdhsa_user_sgpr_queue_ptr 0
		.amdhsa_user_sgpr_kernarg_segment_ptr 1
		.amdhsa_user_sgpr_dispatch_id 0
		.amdhsa_user_sgpr_flat_scratch_init 0
		.amdhsa_user_sgpr_private_segment_size 0
		.amdhsa_uses_dynamic_stack 0
		.amdhsa_system_sgpr_private_segment_wavefront_offset 0
		.amdhsa_system_sgpr_workgroup_id_x 1
		.amdhsa_system_sgpr_workgroup_id_y 0
		.amdhsa_system_sgpr_workgroup_id_z 0
		.amdhsa_system_sgpr_workgroup_info 0
		.amdhsa_system_vgpr_workitem_id 0
		.amdhsa_next_free_vgpr 65
		.amdhsa_next_free_sgpr 32
		.amdhsa_reserve_vcc 1
		.amdhsa_reserve_flat_scratch 0
		.amdhsa_float_round_mode_32 0
		.amdhsa_float_round_mode_16_64 0
		.amdhsa_float_denorm_mode_32 3
		.amdhsa_float_denorm_mode_16_64 3
		.amdhsa_dx10_clamp 1
		.amdhsa_ieee_mode 1
		.amdhsa_fp16_overflow 0
		.amdhsa_exception_fp_ieee_invalid_op 0
		.amdhsa_exception_fp_denorm_src 0
		.amdhsa_exception_fp_ieee_div_zero 0
		.amdhsa_exception_fp_ieee_overflow 0
		.amdhsa_exception_fp_ieee_underflow 0
		.amdhsa_exception_fp_ieee_inexact 0
		.amdhsa_exception_int_div_zero 0
	.end_amdhsa_kernel
	.text
.Lfunc_end0:
	.size	fft_rtc_fwd_len1080_factors_6_10_6_3_wgs_216_tpt_108_halfLds_sp_op_CI_CI_sbrr_dirReg, .Lfunc_end0-fft_rtc_fwd_len1080_factors_6_10_6_3_wgs_216_tpt_108_halfLds_sp_op_CI_CI_sbrr_dirReg
                                        ; -- End function
	.section	.AMDGPU.csdata,"",@progbits
; Kernel info:
; codeLenInByte = 7408
; NumSgprs: 36
; NumVgprs: 65
; ScratchSize: 0
; MemoryBound: 0
; FloatMode: 240
; IeeeMode: 1
; LDSByteSize: 0 bytes/workgroup (compile time only)
; SGPRBlocks: 4
; VGPRBlocks: 16
; NumSGPRsForWavesPerEU: 36
; NumVGPRsForWavesPerEU: 65
; Occupancy: 3
; WaveLimiterHint : 1
; COMPUTE_PGM_RSRC2:SCRATCH_EN: 0
; COMPUTE_PGM_RSRC2:USER_SGPR: 6
; COMPUTE_PGM_RSRC2:TRAP_HANDLER: 0
; COMPUTE_PGM_RSRC2:TGID_X_EN: 1
; COMPUTE_PGM_RSRC2:TGID_Y_EN: 0
; COMPUTE_PGM_RSRC2:TGID_Z_EN: 0
; COMPUTE_PGM_RSRC2:TIDIG_COMP_CNT: 0
	.type	__hip_cuid_fa6069c261fc6eed,@object ; @__hip_cuid_fa6069c261fc6eed
	.section	.bss,"aw",@nobits
	.globl	__hip_cuid_fa6069c261fc6eed
__hip_cuid_fa6069c261fc6eed:
	.byte	0                               ; 0x0
	.size	__hip_cuid_fa6069c261fc6eed, 1

	.ident	"AMD clang version 19.0.0git (https://github.com/RadeonOpenCompute/llvm-project roc-6.4.0 25133 c7fe45cf4b819c5991fe208aaa96edf142730f1d)"
	.section	".note.GNU-stack","",@progbits
	.addrsig
	.addrsig_sym __hip_cuid_fa6069c261fc6eed
	.amdgpu_metadata
---
amdhsa.kernels:
  - .args:
      - .actual_access:  read_only
        .address_space:  global
        .offset:         0
        .size:           8
        .value_kind:     global_buffer
      - .offset:         8
        .size:           8
        .value_kind:     by_value
      - .actual_access:  read_only
        .address_space:  global
        .offset:         16
        .size:           8
        .value_kind:     global_buffer
      - .actual_access:  read_only
        .address_space:  global
        .offset:         24
        .size:           8
        .value_kind:     global_buffer
      - .actual_access:  read_only
        .address_space:  global
        .offset:         32
        .size:           8
        .value_kind:     global_buffer
      - .offset:         40
        .size:           8
        .value_kind:     by_value
      - .actual_access:  read_only
        .address_space:  global
        .offset:         48
        .size:           8
        .value_kind:     global_buffer
      - .actual_access:  read_only
        .address_space:  global
        .offset:         56
        .size:           8
        .value_kind:     global_buffer
      - .offset:         64
        .size:           4
        .value_kind:     by_value
      - .actual_access:  read_only
        .address_space:  global
        .offset:         72
        .size:           8
        .value_kind:     global_buffer
      - .actual_access:  read_only
        .address_space:  global
        .offset:         80
        .size:           8
        .value_kind:     global_buffer
      - .actual_access:  read_only
        .address_space:  global
        .offset:         88
        .size:           8
        .value_kind:     global_buffer
      - .actual_access:  write_only
        .address_space:  global
        .offset:         96
        .size:           8
        .value_kind:     global_buffer
    .group_segment_fixed_size: 0
    .kernarg_segment_align: 8
    .kernarg_segment_size: 104
    .language:       OpenCL C
    .language_version:
      - 2
      - 0
    .max_flat_workgroup_size: 216
    .name:           fft_rtc_fwd_len1080_factors_6_10_6_3_wgs_216_tpt_108_halfLds_sp_op_CI_CI_sbrr_dirReg
    .private_segment_fixed_size: 0
    .sgpr_count:     36
    .sgpr_spill_count: 0
    .symbol:         fft_rtc_fwd_len1080_factors_6_10_6_3_wgs_216_tpt_108_halfLds_sp_op_CI_CI_sbrr_dirReg.kd
    .uniform_work_group_size: 1
    .uses_dynamic_stack: false
    .vgpr_count:     65
    .vgpr_spill_count: 0
    .wavefront_size: 64
amdhsa.target:   amdgcn-amd-amdhsa--gfx906
amdhsa.version:
  - 1
  - 2
...

	.end_amdgpu_metadata
